;; amdgpu-corpus repo=ROCm/rocFFT kind=compiled arch=gfx1100 opt=O3
	.text
	.amdgcn_target "amdgcn-amd-amdhsa--gfx1100"
	.amdhsa_code_object_version 6
	.protected	fft_rtc_fwd_len4096_factors_16_16_16_wgs_256_tpt_256_halfLds_sp_ip_CI_unitstride_sbrr_dirReg ; -- Begin function fft_rtc_fwd_len4096_factors_16_16_16_wgs_256_tpt_256_halfLds_sp_ip_CI_unitstride_sbrr_dirReg
	.globl	fft_rtc_fwd_len4096_factors_16_16_16_wgs_256_tpt_256_halfLds_sp_ip_CI_unitstride_sbrr_dirReg
	.p2align	8
	.type	fft_rtc_fwd_len4096_factors_16_16_16_wgs_256_tpt_256_halfLds_sp_ip_CI_unitstride_sbrr_dirReg,@function
fft_rtc_fwd_len4096_factors_16_16_16_wgs_256_tpt_256_halfLds_sp_ip_CI_unitstride_sbrr_dirReg: ; @fft_rtc_fwd_len4096_factors_16_16_16_wgs_256_tpt_256_halfLds_sp_ip_CI_unitstride_sbrr_dirReg
; %bb.0:
	s_clause 0x2
	s_load_b128 s[4:7], s[0:1], 0x0
	s_load_b64 s[8:9], s[0:1], 0x50
	s_load_b64 s[10:11], s[0:1], 0x18
	v_mov_b32_e32 v1, 0
	v_mov_b32_e32 v3, 0
	v_dual_mov_b32 v4, 0 :: v_dual_mov_b32 v5, s15
	s_delay_alu instid0(VALU_DEP_3) | instskip(SKIP_2) | instid1(VALU_DEP_1)
	v_mov_b32_e32 v6, v1
	s_waitcnt lgkmcnt(0)
	v_cmp_lt_u64_e64 s2, s[6:7], 2
	s_and_b32 vcc_lo, exec_lo, s2
	s_cbranch_vccnz .LBB0_8
; %bb.1:
	s_load_b64 s[2:3], s[0:1], 0x10
	v_mov_b32_e32 v3, 0
	s_add_u32 s12, s10, 8
	v_mov_b32_e32 v4, 0
	s_addc_u32 s13, s11, 0
	s_mov_b64 s[16:17], 1
	s_waitcnt lgkmcnt(0)
	s_add_u32 s14, s2, 8
	s_addc_u32 s15, s3, 0
.LBB0_2:                                ; =>This Inner Loop Header: Depth=1
	s_load_b64 s[18:19], s[14:15], 0x0
                                        ; implicit-def: $vgpr11_vgpr12
	s_mov_b32 s2, exec_lo
	s_waitcnt lgkmcnt(0)
	v_or_b32_e32 v2, s19, v6
	s_delay_alu instid0(VALU_DEP_1)
	v_cmpx_ne_u64_e32 0, v[1:2]
	s_xor_b32 s3, exec_lo, s2
	s_cbranch_execz .LBB0_4
; %bb.3:                                ;   in Loop: Header=BB0_2 Depth=1
	v_cvt_f32_u32_e32 v2, s18
	v_cvt_f32_u32_e32 v7, s19
	s_sub_u32 s2, 0, s18
	s_subb_u32 s20, 0, s19
	s_delay_alu instid0(VALU_DEP_1) | instskip(NEXT) | instid1(VALU_DEP_1)
	v_fmac_f32_e32 v2, 0x4f800000, v7
	v_rcp_f32_e32 v2, v2
	s_waitcnt_depctr 0xfff
	v_mul_f32_e32 v2, 0x5f7ffffc, v2
	s_delay_alu instid0(VALU_DEP_1) | instskip(NEXT) | instid1(VALU_DEP_1)
	v_mul_f32_e32 v7, 0x2f800000, v2
	v_trunc_f32_e32 v7, v7
	s_delay_alu instid0(VALU_DEP_1) | instskip(SKIP_1) | instid1(VALU_DEP_2)
	v_fmac_f32_e32 v2, 0xcf800000, v7
	v_cvt_u32_f32_e32 v7, v7
	v_cvt_u32_f32_e32 v2, v2
	s_delay_alu instid0(VALU_DEP_2) | instskip(NEXT) | instid1(VALU_DEP_2)
	v_mul_lo_u32 v8, s2, v7
	v_mul_hi_u32 v9, s2, v2
	v_mul_lo_u32 v10, s20, v2
	s_delay_alu instid0(VALU_DEP_2) | instskip(SKIP_1) | instid1(VALU_DEP_2)
	v_add_nc_u32_e32 v8, v9, v8
	v_mul_lo_u32 v9, s2, v2
	v_add_nc_u32_e32 v8, v8, v10
	s_delay_alu instid0(VALU_DEP_2) | instskip(NEXT) | instid1(VALU_DEP_2)
	v_mul_hi_u32 v10, v2, v9
	v_mul_lo_u32 v11, v2, v8
	v_mul_hi_u32 v12, v2, v8
	v_mul_hi_u32 v13, v7, v9
	v_mul_lo_u32 v9, v7, v9
	v_mul_hi_u32 v14, v7, v8
	v_mul_lo_u32 v8, v7, v8
	v_add_co_u32 v10, vcc_lo, v10, v11
	v_add_co_ci_u32_e32 v11, vcc_lo, 0, v12, vcc_lo
	s_delay_alu instid0(VALU_DEP_2) | instskip(NEXT) | instid1(VALU_DEP_2)
	v_add_co_u32 v9, vcc_lo, v10, v9
	v_add_co_ci_u32_e32 v9, vcc_lo, v11, v13, vcc_lo
	v_add_co_ci_u32_e32 v10, vcc_lo, 0, v14, vcc_lo
	s_delay_alu instid0(VALU_DEP_2) | instskip(NEXT) | instid1(VALU_DEP_2)
	v_add_co_u32 v8, vcc_lo, v9, v8
	v_add_co_ci_u32_e32 v9, vcc_lo, 0, v10, vcc_lo
	s_delay_alu instid0(VALU_DEP_2) | instskip(NEXT) | instid1(VALU_DEP_2)
	v_add_co_u32 v2, vcc_lo, v2, v8
	v_add_co_ci_u32_e32 v7, vcc_lo, v7, v9, vcc_lo
	s_delay_alu instid0(VALU_DEP_2) | instskip(SKIP_1) | instid1(VALU_DEP_3)
	v_mul_hi_u32 v8, s2, v2
	v_mul_lo_u32 v10, s20, v2
	v_mul_lo_u32 v9, s2, v7
	s_delay_alu instid0(VALU_DEP_1) | instskip(SKIP_1) | instid1(VALU_DEP_2)
	v_add_nc_u32_e32 v8, v8, v9
	v_mul_lo_u32 v9, s2, v2
	v_add_nc_u32_e32 v8, v8, v10
	s_delay_alu instid0(VALU_DEP_2) | instskip(NEXT) | instid1(VALU_DEP_2)
	v_mul_hi_u32 v10, v2, v9
	v_mul_lo_u32 v11, v2, v8
	v_mul_hi_u32 v12, v2, v8
	v_mul_hi_u32 v13, v7, v9
	v_mul_lo_u32 v9, v7, v9
	v_mul_hi_u32 v14, v7, v8
	v_mul_lo_u32 v8, v7, v8
	v_add_co_u32 v10, vcc_lo, v10, v11
	v_add_co_ci_u32_e32 v11, vcc_lo, 0, v12, vcc_lo
	s_delay_alu instid0(VALU_DEP_2) | instskip(NEXT) | instid1(VALU_DEP_2)
	v_add_co_u32 v9, vcc_lo, v10, v9
	v_add_co_ci_u32_e32 v9, vcc_lo, v11, v13, vcc_lo
	v_add_co_ci_u32_e32 v10, vcc_lo, 0, v14, vcc_lo
	s_delay_alu instid0(VALU_DEP_2) | instskip(NEXT) | instid1(VALU_DEP_2)
	v_add_co_u32 v8, vcc_lo, v9, v8
	v_add_co_ci_u32_e32 v9, vcc_lo, 0, v10, vcc_lo
	s_delay_alu instid0(VALU_DEP_2) | instskip(NEXT) | instid1(VALU_DEP_2)
	v_add_co_u32 v2, vcc_lo, v2, v8
	v_add_co_ci_u32_e32 v13, vcc_lo, v7, v9, vcc_lo
	s_delay_alu instid0(VALU_DEP_2) | instskip(SKIP_1) | instid1(VALU_DEP_3)
	v_mul_hi_u32 v14, v5, v2
	v_mad_u64_u32 v[9:10], null, v6, v2, 0
	v_mad_u64_u32 v[7:8], null, v5, v13, 0
	;; [unrolled: 1-line block ×3, first 2 shown]
	s_delay_alu instid0(VALU_DEP_2) | instskip(NEXT) | instid1(VALU_DEP_3)
	v_add_co_u32 v2, vcc_lo, v14, v7
	v_add_co_ci_u32_e32 v7, vcc_lo, 0, v8, vcc_lo
	s_delay_alu instid0(VALU_DEP_2) | instskip(NEXT) | instid1(VALU_DEP_2)
	v_add_co_u32 v2, vcc_lo, v2, v9
	v_add_co_ci_u32_e32 v2, vcc_lo, v7, v10, vcc_lo
	v_add_co_ci_u32_e32 v7, vcc_lo, 0, v12, vcc_lo
	s_delay_alu instid0(VALU_DEP_2) | instskip(NEXT) | instid1(VALU_DEP_2)
	v_add_co_u32 v2, vcc_lo, v2, v11
	v_add_co_ci_u32_e32 v9, vcc_lo, 0, v7, vcc_lo
	s_delay_alu instid0(VALU_DEP_2) | instskip(SKIP_1) | instid1(VALU_DEP_3)
	v_mul_lo_u32 v10, s19, v2
	v_mad_u64_u32 v[7:8], null, s18, v2, 0
	v_mul_lo_u32 v11, s18, v9
	s_delay_alu instid0(VALU_DEP_2) | instskip(NEXT) | instid1(VALU_DEP_2)
	v_sub_co_u32 v7, vcc_lo, v5, v7
	v_add3_u32 v8, v8, v11, v10
	s_delay_alu instid0(VALU_DEP_1) | instskip(NEXT) | instid1(VALU_DEP_1)
	v_sub_nc_u32_e32 v10, v6, v8
	v_subrev_co_ci_u32_e64 v10, s2, s19, v10, vcc_lo
	v_add_co_u32 v11, s2, v2, 2
	s_delay_alu instid0(VALU_DEP_1) | instskip(SKIP_3) | instid1(VALU_DEP_3)
	v_add_co_ci_u32_e64 v12, s2, 0, v9, s2
	v_sub_co_u32 v13, s2, v7, s18
	v_sub_co_ci_u32_e32 v8, vcc_lo, v6, v8, vcc_lo
	v_subrev_co_ci_u32_e64 v10, s2, 0, v10, s2
	v_cmp_le_u32_e32 vcc_lo, s18, v13
	s_delay_alu instid0(VALU_DEP_3) | instskip(SKIP_1) | instid1(VALU_DEP_4)
	v_cmp_eq_u32_e64 s2, s19, v8
	v_cndmask_b32_e64 v13, 0, -1, vcc_lo
	v_cmp_le_u32_e32 vcc_lo, s19, v10
	v_cndmask_b32_e64 v14, 0, -1, vcc_lo
	v_cmp_le_u32_e32 vcc_lo, s18, v7
	;; [unrolled: 2-line block ×3, first 2 shown]
	v_cndmask_b32_e64 v15, 0, -1, vcc_lo
	v_cmp_eq_u32_e32 vcc_lo, s19, v10
	s_delay_alu instid0(VALU_DEP_2) | instskip(SKIP_3) | instid1(VALU_DEP_3)
	v_cndmask_b32_e64 v7, v15, v7, s2
	v_cndmask_b32_e32 v10, v14, v13, vcc_lo
	v_add_co_u32 v13, vcc_lo, v2, 1
	v_add_co_ci_u32_e32 v14, vcc_lo, 0, v9, vcc_lo
	v_cmp_ne_u32_e32 vcc_lo, 0, v10
	s_delay_alu instid0(VALU_DEP_2) | instskip(NEXT) | instid1(VALU_DEP_4)
	v_cndmask_b32_e32 v8, v14, v12, vcc_lo
	v_cndmask_b32_e32 v10, v13, v11, vcc_lo
	v_cmp_ne_u32_e32 vcc_lo, 0, v7
	s_delay_alu instid0(VALU_DEP_2)
	v_dual_cndmask_b32 v11, v2, v10 :: v_dual_cndmask_b32 v12, v9, v8
.LBB0_4:                                ;   in Loop: Header=BB0_2 Depth=1
	s_and_not1_saveexec_b32 s2, s3
	s_cbranch_execz .LBB0_6
; %bb.5:                                ;   in Loop: Header=BB0_2 Depth=1
	v_cvt_f32_u32_e32 v2, s18
	s_sub_i32 s3, 0, s18
	v_mov_b32_e32 v12, v1
	s_delay_alu instid0(VALU_DEP_2) | instskip(SKIP_2) | instid1(VALU_DEP_1)
	v_rcp_iflag_f32_e32 v2, v2
	s_waitcnt_depctr 0xfff
	v_mul_f32_e32 v2, 0x4f7ffffe, v2
	v_cvt_u32_f32_e32 v2, v2
	s_delay_alu instid0(VALU_DEP_1) | instskip(NEXT) | instid1(VALU_DEP_1)
	v_mul_lo_u32 v7, s3, v2
	v_mul_hi_u32 v7, v2, v7
	s_delay_alu instid0(VALU_DEP_1) | instskip(NEXT) | instid1(VALU_DEP_1)
	v_add_nc_u32_e32 v2, v2, v7
	v_mul_hi_u32 v2, v5, v2
	s_delay_alu instid0(VALU_DEP_1) | instskip(SKIP_1) | instid1(VALU_DEP_2)
	v_mul_lo_u32 v7, v2, s18
	v_add_nc_u32_e32 v8, 1, v2
	v_sub_nc_u32_e32 v7, v5, v7
	s_delay_alu instid0(VALU_DEP_1) | instskip(SKIP_1) | instid1(VALU_DEP_2)
	v_subrev_nc_u32_e32 v9, s18, v7
	v_cmp_le_u32_e32 vcc_lo, s18, v7
	v_dual_cndmask_b32 v7, v7, v9 :: v_dual_cndmask_b32 v2, v2, v8
	s_delay_alu instid0(VALU_DEP_1) | instskip(NEXT) | instid1(VALU_DEP_2)
	v_cmp_le_u32_e32 vcc_lo, s18, v7
	v_add_nc_u32_e32 v8, 1, v2
	s_delay_alu instid0(VALU_DEP_1)
	v_cndmask_b32_e32 v11, v2, v8, vcc_lo
.LBB0_6:                                ;   in Loop: Header=BB0_2 Depth=1
	s_or_b32 exec_lo, exec_lo, s2
	s_load_b64 s[2:3], s[12:13], 0x0
	v_mul_lo_u32 v2, v12, s18
	s_delay_alu instid0(VALU_DEP_2)
	v_mul_lo_u32 v9, v11, s19
	v_mad_u64_u32 v[7:8], null, v11, s18, 0
	s_add_u32 s16, s16, 1
	s_addc_u32 s17, s17, 0
	s_add_u32 s12, s12, 8
	s_addc_u32 s13, s13, 0
	;; [unrolled: 2-line block ×3, first 2 shown]
	s_delay_alu instid0(VALU_DEP_1) | instskip(SKIP_1) | instid1(VALU_DEP_2)
	v_add3_u32 v2, v8, v9, v2
	v_sub_co_u32 v7, vcc_lo, v5, v7
	v_sub_co_ci_u32_e32 v2, vcc_lo, v6, v2, vcc_lo
	s_waitcnt lgkmcnt(0)
	s_delay_alu instid0(VALU_DEP_2) | instskip(NEXT) | instid1(VALU_DEP_2)
	v_mul_lo_u32 v8, s3, v7
	v_mul_lo_u32 v2, s2, v2
	v_mad_u64_u32 v[5:6], null, s2, v7, v[3:4]
	v_cmp_ge_u64_e64 s2, s[16:17], s[6:7]
	s_delay_alu instid0(VALU_DEP_1) | instskip(NEXT) | instid1(VALU_DEP_2)
	s_and_b32 vcc_lo, exec_lo, s2
	v_add3_u32 v4, v8, v6, v2
	s_delay_alu instid0(VALU_DEP_3)
	v_mov_b32_e32 v3, v5
	s_cbranch_vccnz .LBB0_9
; %bb.7:                                ;   in Loop: Header=BB0_2 Depth=1
	v_dual_mov_b32 v5, v11 :: v_dual_mov_b32 v6, v12
	s_branch .LBB0_2
.LBB0_8:
	v_dual_mov_b32 v12, v6 :: v_dual_mov_b32 v11, v5
.LBB0_9:
	s_lshl_b64 s[2:3], s[6:7], 3
                                        ; implicit-def: $vgpr32
                                        ; implicit-def: $vgpr24
                                        ; implicit-def: $vgpr28
                                        ; implicit-def: $vgpr20
                                        ; implicit-def: $vgpr34
                                        ; implicit-def: $vgpr26
                                        ; implicit-def: $vgpr30
                                        ; implicit-def: $vgpr22
	v_mov_b32_e32 v35, 0
	s_add_u32 s2, s10, s2
	s_addc_u32 s3, s11, s3
	s_load_b64 s[2:3], s[2:3], 0x0
	s_load_b64 s[0:1], s[0:1], 0x20
	s_waitcnt lgkmcnt(0)
	v_mul_lo_u32 v5, s2, v12
	v_mul_lo_u32 v6, s3, v11
	v_mad_u64_u32 v[1:2], null, s2, v11, v[3:4]
	v_mov_b32_e32 v3, 0
	v_mov_b32_e32 v4, 0
	v_cmp_gt_u64_e32 vcc_lo, s[0:1], v[11:12]
	s_delay_alu instid0(VALU_DEP_2) | instskip(SKIP_3) | instid1(VALU_DEP_3)
	v_dual_mov_b32 v18, v4 :: v_dual_mov_b32 v17, v3
	v_add3_u32 v2, v6, v2, v5
	v_dual_mov_b32 v10, v4 :: v_dual_mov_b32 v9, v3
	v_dual_mov_b32 v16, v4 :: v_dual_mov_b32 v15, v3
	v_lshlrev_b64 v[1:2], 3, v[1:2]
	v_dual_mov_b32 v8, v4 :: v_dual_mov_b32 v7, v3
	v_dual_mov_b32 v14, v4 :: v_dual_mov_b32 v13, v3
	;; [unrolled: 1-line block ×4, first 2 shown]
	s_and_saveexec_b32 s1, vcc_lo
	s_cbranch_execz .LBB0_11
; %bb.10:
	v_lshlrev_b32_e32 v23, 3, v0
	v_add_co_u32 v24, s0, s8, v1
	s_delay_alu instid0(VALU_DEP_1) | instskip(NEXT) | instid1(VALU_DEP_3)
	v_add_co_ci_u32_e64 v27, s0, s9, v2, s0
	v_or_b32_e32 v3, 0x1000, v23
	s_delay_alu instid0(VALU_DEP_3) | instskip(SKIP_1) | instid1(VALU_DEP_4)
	v_add_co_u32 v5, s0, v24, v23
	v_or_b32_e32 v4, 0x1800, v23
	v_add_co_ci_u32_e64 v6, s0, 0, v27, s0
	s_delay_alu instid0(VALU_DEP_4) | instskip(NEXT) | instid1(VALU_DEP_1)
	v_add_co_u32 v9, s0, v24, v3
	v_add_co_ci_u32_e64 v10, s0, 0, v27, s0
	v_or_b32_e32 v13, 0x2000, v23
	v_add_co_u32 v11, s0, v24, v4
	s_delay_alu instid0(VALU_DEP_1)
	v_add_co_ci_u32_e64 v12, s0, 0, v27, s0
	v_or_b32_e32 v14, 0x2800, v23
	s_clause 0x3
	global_load_b64 v[3:4], v[5:6], off
	global_load_b64 v[7:8], v[5:6], off offset:2048
	global_load_b64 v[9:10], v[9:10], off
	global_load_b64 v[5:6], v[11:12], off
	v_add_co_u32 v11, s0, v24, v13
	v_or_b32_e32 v15, 0x3000, v23
	v_add_co_ci_u32_e64 v12, s0, 0, v27, s0
	v_add_co_u32 v13, s0, v24, v14
	v_or_b32_e32 v17, 0x3800, v23
	v_add_co_ci_u32_e64 v14, s0, 0, v27, s0
	v_add_co_u32 v15, s0, v24, v15
	s_delay_alu instid0(VALU_DEP_1) | instskip(SKIP_2) | instid1(VALU_DEP_1)
	v_add_co_ci_u32_e64 v16, s0, 0, v27, s0
	v_or_b32_e32 v21, 0x4000, v23
	v_add_co_u32 v19, s0, v24, v17
	v_add_co_ci_u32_e64 v20, s0, 0, v27, s0
	v_or_b32_e32 v22, 0x4800, v23
	s_clause 0x3
	global_load_b64 v[17:18], v[11:12], off
	global_load_b64 v[13:14], v[13:14], off
	;; [unrolled: 1-line block ×4, first 2 shown]
	v_add_co_u32 v19, s0, v24, v21
	v_or_b32_e32 v25, 0x5000, v23
	v_add_co_ci_u32_e64 v20, s0, 0, v27, s0
	v_add_co_u32 v21, s0, v24, v22
	v_or_b32_e32 v28, 0x5800, v23
	v_add_co_ci_u32_e64 v22, s0, 0, v27, s0
	;; [unrolled: 3-line block ×6, first 2 shown]
	v_add_co_u32 v37, s0, v24, v31
	s_delay_alu instid0(VALU_DEP_1) | instskip(NEXT) | instid1(VALU_DEP_4)
	v_add_co_ci_u32_e64 v38, s0, 0, v27, s0
	v_add_co_u32 v39, s0, v24, v23
	s_delay_alu instid0(VALU_DEP_1)
	v_add_co_ci_u32_e64 v40, s0, 0, v27, s0
	s_clause 0x7
	global_load_b64 v[31:32], v[19:20], off
	global_load_b64 v[23:24], v[21:22], off
	;; [unrolled: 1-line block ×8, first 2 shown]
	v_mov_b32_e32 v35, v0
.LBB0_11:
	s_or_b32 exec_lo, exec_lo, s1
	s_waitcnt vmcnt(7)
	v_dual_sub_f32 v31, v3, v31 :: v_dual_sub_f32 v32, v4, v32
	s_waitcnt vmcnt(3)
	v_dual_sub_f32 v33, v17, v33 :: v_dual_sub_f32 v34, v18, v34
	v_dual_sub_f32 v27, v9, v27 :: v_dual_sub_f32 v28, v10, v28
	s_waitcnt vmcnt(1)
	v_dual_sub_f32 v29, v15, v29 :: v_dual_sub_f32 v30, v16, v30
	s_delay_alu instid0(VALU_DEP_3) | instskip(SKIP_2) | instid1(VALU_DEP_4)
	v_fma_f32 v17, v17, 2.0, -v33
	v_fma_f32 v18, v18, 2.0, -v34
	v_dual_sub_f32 v34, v31, v34 :: v_dual_add_f32 v33, v33, v32
	v_fma_f32 v15, v15, 2.0, -v29
	v_fma_f32 v16, v16, 2.0, -v30
	v_dual_sub_f32 v30, v27, v30 :: v_dual_add_f32 v29, v29, v28
	v_fma_f32 v3, v3, 2.0, -v31
	v_fma_f32 v4, v4, 2.0, -v32
	;; [unrolled: 1-line block ×4, first 2 shown]
	v_dual_sub_f32 v23, v7, v23 :: v_dual_sub_f32 v24, v8, v24
	v_dual_sub_f32 v25, v13, v25 :: v_dual_sub_f32 v26, v14, v26
	;; [unrolled: 1-line block ×3, first 2 shown]
	s_waitcnt vmcnt(0)
	v_dual_sub_f32 v21, v11, v21 :: v_dual_sub_f32 v22, v12, v22
	v_fma_f32 v31, v31, 2.0, -v34
	v_fma_f32 v32, v32, 2.0, -v33
	;; [unrolled: 1-line block ×11, first 2 shown]
	v_dual_sub_f32 v17, v3, v17 :: v_dual_sub_f32 v18, v4, v18
	v_fma_f32 v12, v12, 2.0, -v22
	v_dual_sub_f32 v15, v9, v15 :: v_dual_sub_f32 v16, v10, v16
	v_dual_sub_f32 v26, v23, v26 :: v_dual_add_f32 v25, v25, v24
	v_dual_sub_f32 v22, v19, v22 :: v_dual_add_f32 v21, v21, v20
	v_dual_fmamk_f32 v36, v27, 0xbf3504f3, v31 :: v_dual_fmamk_f32 v39, v28, 0xbf3504f3, v32
	v_fma_f32 v3, v3, 2.0, -v17
	v_fma_f32 v9, v9, 2.0, -v15
	v_dual_sub_f32 v13, v7, v13 :: v_dual_sub_f32 v14, v8, v14
	v_dual_sub_f32 v11, v5, v11 :: v_dual_sub_f32 v12, v6, v12
	v_fma_f32 v23, v23, 2.0, -v26
	v_fma_f32 v19, v19, 2.0, -v22
	v_dual_fmac_f32 v39, 0x3f3504f3, v27 :: v_dual_sub_f32 v40, v17, v16
	v_dual_fmamk_f32 v27, v30, 0x3f3504f3, v34 :: v_dual_fmamk_f32 v42, v29, 0x3f3504f3, v33
	v_fma_f32 v4, v4, 2.0, -v18
	v_fma_f32 v10, v10, 2.0, -v16
	;; [unrolled: 1-line block ×7, first 2 shown]
	v_dual_sub_f32 v37, v3, v9 :: v_dual_sub_f32 v38, v4, v10
	v_fma_f32 v9, v20, 2.0, -v21
	v_dual_fmac_f32 v36, 0xbf3504f3, v28 :: v_dual_add_f32 v41, v18, v15
	v_fmac_f32_e32 v27, 0xbf3504f3, v29
	v_fmamk_f32 v29, v19, 0xbf3504f3, v23
	v_fma_f32 v15, v32, 2.0, -v39
	s_delay_alu instid0(VALU_DEP_4)
	v_fma_f32 v28, v31, 2.0, -v36
	v_fma_f32 v16, v17, 2.0, -v40
	;; [unrolled: 1-line block ×3, first 2 shown]
	v_dual_fmac_f32 v42, 0x3f3504f3, v30 :: v_dual_add_f32 v43, v14, v11
	v_dual_sub_f32 v30, v7, v5 :: v_dual_sub_f32 v31, v8, v6
	v_fmamk_f32 v32, v9, 0xbf3504f3, v24
	v_fma_f32 v18, v34, 2.0, -v27
	v_dual_sub_f32 v34, v13, v12 :: v_dual_fmac_f32 v29, 0xbf3504f3, v9
	v_fma_f32 v20, v4, 2.0, -v38
	v_fma_f32 v4, v8, 2.0, -v31
	v_fmac_f32_e32 v32, 0x3f3504f3, v19
	v_dual_fmamk_f32 v19, v22, 0x3f3504f3, v26 :: v_dual_fmamk_f32 v44, v21, 0x3f3504f3, v25
	v_fma_f32 v8, v23, 2.0, -v29
	v_fma_f32 v10, v3, 2.0, -v37
	;; [unrolled: 1-line block ×3, first 2 shown]
	s_delay_alu instid0(VALU_DEP_4) | instskip(SKIP_2) | instid1(VALU_DEP_4)
	v_fmac_f32_e32 v19, 0xbf3504f3, v21
	v_fma_f32 v21, v13, 2.0, -v34
	v_dual_fmac_f32 v44, 0x3f3504f3, v22 :: v_dual_sub_f32 v5, v20, v4
	v_sub_f32_e32 v3, v10, v3
	v_fma_f32 v11, v24, 2.0, -v32
	v_fmamk_f32 v4, v8, 0xbf6c835e, v28
	v_fma_f32 v33, v33, 2.0, -v42
	v_fma_f32 v14, v14, 2.0, -v43
	;; [unrolled: 1-line block ×3, first 2 shown]
	v_fmamk_f32 v6, v11, 0xbf6c835e, v15
	v_fmac_f32_e32 v4, 0xbec3ef15, v11
	v_dual_fmamk_f32 v11, v21, 0xbf3504f3, v16 :: v_dual_add_f32 v24, v38, v30
	v_fma_f32 v22, v26, 2.0, -v19
	s_delay_alu instid0(VALU_DEP_4) | instskip(SKIP_1) | instid1(VALU_DEP_4)
	v_dual_fmac_f32 v6, 0x3ec3ef15, v8 :: v_dual_fmamk_f32 v25, v32, 0x3ec3ef15, v39
	v_fmamk_f32 v13, v14, 0xbf3504f3, v17
	v_fmac_f32_e32 v11, 0xbf3504f3, v14
	s_delay_alu instid0(VALU_DEP_4)
	v_fmamk_f32 v12, v22, 0xbec3ef15, v18
	v_fmamk_f32 v14, v23, 0xbec3ef15, v33
	;; [unrolled: 1-line block ×3, first 2 shown]
	v_fma_f32 v7, v10, 2.0, -v3
	v_fma_f32 v10, v15, 2.0, -v6
	v_fmac_f32_e32 v12, 0xbf6c835e, v23
	v_fmac_f32_e32 v14, 0x3f6c835e, v22
	v_dual_sub_f32 v22, v37, v31 :: v_dual_fmac_f32 v25, 0x3f6c835e, v29
	v_fmamk_f32 v23, v29, 0x3ec3ef15, v36
	v_fmamk_f32 v29, v19, 0x3f6c835e, v27
	;; [unrolled: 1-line block ×3, first 2 shown]
	v_fma_f32 v15, v16, 2.0, -v11
	v_fma_f32 v16, v18, 2.0, -v12
	v_fmac_f32_e32 v23, 0xbf6c835e, v32
	v_fmac_f32_e32 v29, 0xbec3ef15, v44
	v_fma_f32 v8, v28, 2.0, -v4
	v_fmamk_f32 v28, v34, 0x3f3504f3, v40
	v_fmac_f32_e32 v31, 0x3ec3ef15, v19
	v_lshl_add_u32 v19, v0, 6, 0
	v_fma_f32 v9, v20, 2.0, -v5
	v_fma_f32 v18, v36, 2.0, -v23
	v_fmac_f32_e32 v28, 0xbf3504f3, v43
	v_dual_fmac_f32 v13, 0x3f3504f3, v21 :: v_dual_fmac_f32 v30, 0x3f3504f3, v34
	v_fma_f32 v21, v33, 2.0, -v14
	v_fma_f32 v33, v27, 2.0, -v29
	s_delay_alu instid0(VALU_DEP_4) | instskip(NEXT) | instid1(VALU_DEP_4)
	v_fma_f32 v32, v40, 2.0, -v28
	v_fma_f32 v20, v17, 2.0, -v13
	;; [unrolled: 1-line block ×3, first 2 shown]
	ds_store_2addr_b64 v19, v[7:8], v[15:16] offset1:1
	ds_store_2addr_b64 v19, v[17:18], v[32:33] offset0:2 offset1:3
	ds_store_2addr_b64 v19, v[3:4], v[11:12] offset0:4 offset1:5
	ds_store_2addr_b64 v19, v[22:23], v[28:29] offset0:6 offset1:7
	v_and_b32_e32 v3, 15, v0
	v_mad_i32_i24 v17, 0xffffffc4, v0, v19
	v_fma_f32 v26, v38, 2.0, -v24
	v_fma_f32 v27, v39, 2.0, -v25
	;; [unrolled: 1-line block ×3, first 2 shown]
	v_mul_u32_u24_e32 v3, 15, v3
	v_fma_f32 v37, v42, 2.0, -v31
	s_waitcnt lgkmcnt(0)
	s_barrier
	buffer_gl0_inv
	v_lshlrev_b32_e32 v18, 3, v3
	ds_load_2addr_stride64_b32 v[15:16], v17 offset1:4
	ds_load_2addr_stride64_b32 v[32:33], v17 offset0:8 offset1:12
	ds_load_2addr_stride64_b32 v[40:41], v17 offset0:16 offset1:20
	;; [unrolled: 1-line block ×7, first 2 shown]
	s_waitcnt lgkmcnt(0)
	s_barrier
	buffer_gl0_inv
	ds_store_2addr_b64 v19, v[9:10], v[20:21] offset1:1
	ds_store_2addr_b64 v19, v[26:27], v[36:37] offset0:2 offset1:3
	ds_store_2addr_b64 v19, v[5:6], v[13:14] offset0:4 offset1:5
	;; [unrolled: 1-line block ×3, first 2 shown]
	s_waitcnt lgkmcnt(0)
	s_barrier
	buffer_gl0_inv
	s_clause 0x7
	global_load_b128 v[3:6], v18, s[4:5]
	global_load_b128 v[7:10], v18, s[4:5] offset:16
	global_load_b128 v[11:14], v18, s[4:5] offset:32
	global_load_b128 v[20:23], v18, s[4:5] offset:48
	global_load_b128 v[24:27], v18, s[4:5] offset:64
	global_load_b128 v[28:31], v18, s[4:5] offset:80
	global_load_b128 v[36:39], v18, s[4:5] offset:96
	global_load_b64 v[52:53], v18, s[4:5] offset:112
	ds_load_2addr_stride64_b32 v[54:55], v17 offset1:4
	ds_load_2addr_stride64_b32 v[56:57], v17 offset0:8 offset1:12
	ds_load_2addr_stride64_b32 v[58:59], v17 offset0:16 offset1:20
	;; [unrolled: 1-line block ×7, first 2 shown]
	v_lshl_or_b32 v18, v0, 4, v0
	s_waitcnt vmcnt(0) lgkmcnt(0)
	s_barrier
	buffer_gl0_inv
	v_and_b32_e32 v18, 0xf0f, v18
	v_mul_f32_e32 v70, v56, v6
	v_dual_mul_f32 v6, v32, v6 :: v_dual_mul_f32 v71, v57, v8
	v_dual_mul_f32 v8, v33, v8 :: v_dual_mul_f32 v77, v63, v25
	s_delay_alu instid0(VALU_DEP_4)
	v_lshl_add_u32 v34, v18, 2, 0
	v_mul_f32_e32 v18, v55, v4
	v_mul_f32_e32 v4, v16, v4
	v_dual_mul_f32 v72, v58, v10 :: v_dual_mul_f32 v25, v45, v25
	v_dual_mul_f32 v10, v40, v10 :: v_dual_mul_f32 v73, v59, v12
	v_mul_f32_e32 v12, v41, v12
	v_dual_mul_f32 v74, v60, v14 :: v_dual_mul_f32 v79, v65, v29
	v_dual_mul_f32 v14, v42, v14 :: v_dual_mul_f32 v75, v61, v21
	;; [unrolled: 1-line block ×3, first 2 shown]
	v_mul_f32_e32 v81, v67, v37
	v_mul_f32_e32 v23, v44, v23
	v_dual_mul_f32 v78, v64, v27 :: v_dual_mul_f32 v37, v49, v37
	v_mul_f32_e32 v27, v46, v27
	v_dual_mul_f32 v29, v47, v29 :: v_dual_mul_f32 v80, v66, v31
	v_mul_f32_e32 v31, v48, v31
	v_fma_f32 v16, v16, v3, -v18
	v_dual_fmac_f32 v4, v55, v3 :: v_dual_fmac_f32 v21, v61, v20
	v_fma_f32 v3, v32, v5, -v70
	v_dual_fmac_f32 v6, v56, v5 :: v_dual_fmac_f32 v23, v62, v22
	v_dual_mul_f32 v5, v68, v39 :: v_dual_mul_f32 v32, v69, v53
	v_dual_mul_f32 v18, v50, v39 :: v_dual_fmac_f32 v25, v63, v24
	v_mul_f32_e32 v39, v51, v53
	v_fma_f32 v33, v33, v7, -v71
	v_dual_fmac_f32 v8, v57, v7 :: v_dual_fmac_f32 v27, v64, v26
	v_fma_f32 v7, v40, v9, -v72
	v_dual_fmac_f32 v10, v58, v9 :: v_dual_fmac_f32 v29, v65, v28
	;; [unrolled: 2-line block ×4, first 2 shown]
	v_fma_f32 v13, v43, v20, -v75
	v_fma_f32 v20, v44, v22, -v76
	;; [unrolled: 1-line block ×8, first 2 shown]
	v_dual_fmac_f32 v18, v68, v38 :: v_dual_fmac_f32 v39, v69, v52
	v_fma_f32 v32, v51, v52, -v32
	v_dual_sub_f32 v20, v15, v20 :: v_dual_sub_f32 v23, v54, v23
	v_dual_sub_f32 v28, v7, v28 :: v_dual_sub_f32 v31, v10, v31
	;; [unrolled: 1-line block ×4, first 2 shown]
	v_sub_f32_e32 v22, v16, v22
	v_dual_sub_f32 v25, v4, v25 :: v_dual_sub_f32 v30, v9, v30
	v_dual_sub_f32 v26, v33, v26 :: v_dual_sub_f32 v29, v8, v29
	v_sub_f32_e32 v32, v13, v32
	v_fma_f32 v15, v15, 2.0, -v20
	v_fma_f32 v7, v7, 2.0, -v28
	v_dual_sub_f32 v36, v12, v37 :: v_dual_sub_f32 v37, v21, v39
	v_fma_f32 v38, v54, 2.0, -v23
	v_fma_f32 v10, v10, 2.0, -v31
	s_delay_alu instid0(VALU_DEP_4)
	v_sub_f32_e32 v7, v15, v7
	v_fma_f32 v3, v3, 2.0, -v24
	v_fma_f32 v6, v6, 2.0, -v27
	;; [unrolled: 1-line block ×11, first 2 shown]
	v_sub_f32_e32 v31, v20, v31
	v_fma_f32 v13, v13, 2.0, -v32
	v_dual_add_f32 v28, v23, v28 :: v_dual_sub_f32 v37, v26, v37
	v_dual_sub_f32 v18, v24, v18 :: v_dual_add_f32 v5, v27, v5
	v_dual_sub_f32 v36, v22, v36 :: v_dual_sub_f32 v11, v3, v11
	v_dual_add_f32 v30, v25, v30 :: v_dual_sub_f32 v9, v16, v9
	v_dual_add_f32 v32, v29, v32 :: v_dual_sub_f32 v21, v8, v21
	v_dual_sub_f32 v10, v38, v10 :: v_dual_sub_f32 v13, v33, v13
	s_delay_alu instid0(VALU_DEP_4)
	v_dual_sub_f32 v14, v6, v14 :: v_dual_fmamk_f32 v41, v37, 0x3f3504f3, v36
	v_dual_sub_f32 v12, v4, v12 :: v_dual_fmamk_f32 v39, v18, 0x3f3504f3, v31
	v_fma_f32 v22, v22, 2.0, -v36
	v_fma_f32 v26, v26, 2.0, -v37
	v_dual_fmamk_f32 v40, v5, 0x3f3504f3, v28 :: v_dual_add_f32 v45, v10, v11
	v_fma_f32 v20, v20, 2.0, -v31
	v_fma_f32 v24, v24, 2.0, -v18
	;; [unrolled: 1-line block ×8, first 2 shown]
	v_fmamk_f32 v42, v32, 0x3f3504f3, v30
	v_fma_f32 v6, v6, 2.0, -v14
	v_dual_sub_f32 v14, v7, v14 :: v_dual_fmac_f32 v39, 0xbf3504f3, v5
	v_fmac_f32_e32 v40, 0x3f3504f3, v18
	v_dual_fmamk_f32 v5, v26, 0xbf3504f3, v22 :: v_dual_sub_f32 v18, v9, v21
	v_fma_f32 v23, v23, 2.0, -v28
	v_fma_f32 v16, v16, 2.0, -v9
	;; [unrolled: 1-line block ×5, first 2 shown]
	v_dual_fmamk_f32 v43, v24, 0xbf3504f3, v20 :: v_dual_fmamk_f32 v44, v27, 0xbf3504f3, v23
	v_fmamk_f32 v11, v29, 0xbf3504f3, v25
	v_add_f32_e32 v13, v12, v13
	s_delay_alu instid0(VALU_DEP_4)
	v_dual_sub_f32 v8, v4, v8 :: v_dual_sub_f32 v3, v15, v3
	v_dual_fmac_f32 v42, 0x3f3504f3, v37 :: v_dual_sub_f32 v21, v38, v6
	v_fma_f32 v6, v7, 2.0, -v14
	v_fma_f32 v9, v9, 2.0, -v18
	v_fmac_f32_e32 v41, 0xbf3504f3, v32
	v_fmac_f32_e32 v43, 0xbf3504f3, v27
	;; [unrolled: 1-line block ×3, first 2 shown]
	v_fma_f32 v12, v12, 2.0, -v13
	v_dual_fmac_f32 v44, 0x3f3504f3, v24 :: v_dual_sub_f32 v27, v16, v33
	v_fma_f32 v26, v36, 2.0, -v41
	v_dual_fmamk_f32 v36, v9, 0xbf3504f3, v6 :: v_dual_fmac_f32 v5, 0xbf3504f3, v29
	v_fma_f32 v7, v10, 2.0, -v45
	v_fma_f32 v10, v31, 2.0, -v39
	;; [unrolled: 1-line block ×3, first 2 shown]
	s_delay_alu instid0(VALU_DEP_4)
	v_fmac_f32_e32 v36, 0xbf3504f3, v12
	v_fma_f32 v28, v30, 2.0, -v42
	v_dual_fmamk_f32 v29, v18, 0x3f3504f3, v14 :: v_dual_fmamk_f32 v30, v13, 0x3f3504f3, v45
	v_dual_fmamk_f32 v31, v41, 0x3f6c835e, v39 :: v_dual_fmamk_f32 v32, v42, 0x3f6c835e, v40
	v_fma_f32 v33, v38, 2.0, -v21
	v_fma_f32 v4, v4, 2.0, -v8
	;; [unrolled: 1-line block ×3, first 2 shown]
	v_sub_f32_e32 v8, v3, v8
	v_fma_f32 v20, v20, 2.0, -v43
	v_fma_f32 v23, v23, 2.0, -v44
	;; [unrolled: 1-line block ×3, first 2 shown]
	v_fmamk_f32 v37, v12, 0xbf3504f3, v7
	v_fmamk_f32 v38, v26, 0xbec3ef15, v10
	v_dual_fmamk_f32 v47, v5, 0x3ec3ef15, v43 :: v_dual_fmamk_f32 v48, v11, 0x3ec3ef15, v44
	v_fma_f32 v15, v15, 2.0, -v3
	v_fma_f32 v16, v16, 2.0, -v27
	v_dual_fmamk_f32 v46, v28, 0xbec3ef15, v24 :: v_dual_fmac_f32 v31, 0xbec3ef15, v42
	v_fmac_f32_e32 v29, 0xbf3504f3, v13
	v_dual_fmac_f32 v32, 0x3ec3ef15, v41 :: v_dual_sub_f32 v41, v33, v4
	v_dual_fmamk_f32 v4, v22, 0xbf6c835e, v20 :: v_dual_fmac_f32 v47, 0xbf6c835e, v11
	v_add_f32_e32 v27, v21, v27
	v_fmamk_f32 v42, v25, 0xbf6c835e, v23
	v_fmac_f32_e32 v37, 0x3f3504f3, v9
	v_fmac_f32_e32 v38, 0xbf6c835e, v28
	v_dual_fmac_f32 v30, 0x3f3504f3, v18 :: v_dual_sub_f32 v13, v15, v16
	v_fmac_f32_e32 v48, 0x3f6c835e, v5
	v_fma_f32 v5, v14, 2.0, -v29
	v_fma_f32 v9, v39, 2.0, -v31
	v_fmac_f32_e32 v4, 0xbec3ef15, v25
	v_fmac_f32_e32 v42, 0x3ec3ef15, v22
	v_fma_f32 v6, v6, 2.0, -v36
	v_fma_f32 v22, v7, 2.0, -v37
	;; [unrolled: 1-line block ×5, first 2 shown]
	ds_store_2addr_b32 v34, v29, v31 offset0:224 offset1:240
	v_fma_f32 v11, v15, 2.0, -v13
	ds_store_2addr_b32 v34, v5, v9 offset0:96 offset1:112
	ds_store_2addr_b32 v34, v36, v38 offset0:160 offset1:176
	;; [unrolled: 1-line block ×3, first 2 shown]
	v_fma_f32 v5, v20, 2.0, -v4
	ds_store_2addr_b32 v34, v6, v7 offset0:32 offset1:48
	ds_store_2addr_b32 v34, v3, v10 offset0:64 offset1:80
	;; [unrolled: 1-line block ×3, first 2 shown]
	ds_store_2addr_b32 v34, v11, v5 offset1:16
	s_waitcnt lgkmcnt(0)
	s_barrier
	buffer_gl0_inv
	ds_load_2addr_stride64_b32 v[3:4], v17 offset1:4
	ds_load_2addr_stride64_b32 v[11:12], v17 offset0:8 offset1:12
	ds_load_2addr_stride64_b32 v[7:8], v17 offset0:16 offset1:20
	;; [unrolled: 1-line block ×7, first 2 shown]
	v_fmac_f32_e32 v46, 0x3f6c835e, v26
	v_fma_f32 v26, v33, 2.0, -v41
	v_fma_f32 v20, v23, 2.0, -v42
	;; [unrolled: 1-line block ×7, first 2 shown]
	s_waitcnt lgkmcnt(0)
	s_barrier
	buffer_gl0_inv
	ds_store_2addr_b32 v34, v26, v20 offset1:16
	ds_store_2addr_b32 v34, v22, v23 offset0:32 offset1:48
	ds_store_2addr_b32 v34, v21, v24 offset0:64 offset1:80
	;; [unrolled: 1-line block ×7, first 2 shown]
	s_waitcnt lgkmcnt(0)
	s_barrier
	buffer_gl0_inv
	s_and_saveexec_b32 s0, vcc_lo
	s_cbranch_execz .LBB0_13
; %bb.12:
	v_mul_u32_u24_e32 v20, 15, v0
	v_mul_i32_i24_e32 v0, 0xffffffc4, v0
	v_add_co_u32 v82, vcc_lo, s8, v1
	v_add_co_ci_u32_e32 v2, vcc_lo, s9, v2, vcc_lo
	s_delay_alu instid0(VALU_DEP_4)
	v_lshlrev_b32_e32 v34, 3, v20
	s_clause 0x7
	global_load_b128 v[20:23], v34, s[4:5] offset:1952
	global_load_b128 v[24:27], v34, s[4:5] offset:2016
	global_load_b64 v[32:33], v34, s[4:5] offset:2032
	global_load_b128 v[28:31], v34, s[4:5] offset:1968
	global_load_b128 v[36:39], v34, s[4:5] offset:1920
	;; [unrolled: 1-line block ×5, first 2 shown]
	v_lshlrev_b32_e32 v34, 3, v35
	v_add_nc_u32_e32 v19, v19, v0
	s_delay_alu instid0(VALU_DEP_2) | instskip(SKIP_3) | instid1(VALU_DEP_4)
	v_or_b32_e32 v66, 0x1000, v34
	v_add_co_u32 v0, vcc_lo, v82, v34
	v_or_b32_e32 v68, 0x1800, v34
	v_add_co_ci_u32_e32 v1, vcc_lo, 0, v2, vcc_lo
	v_add_co_u32 v66, vcc_lo, v82, v66
	v_or_b32_e32 v70, 0x2000, v34
	v_add_co_ci_u32_e32 v67, vcc_lo, 0, v2, vcc_lo
	v_add_co_u32 v68, vcc_lo, v82, v68
	v_or_b32_e32 v72, 0x2800, v34
	v_or_b32_e32 v74, 0x3000, v34
	v_or_b32_e32 v76, 0x3800, v34
	v_or_b32_e32 v78, 0x4000, v34
	v_or_b32_e32 v80, 0x4800, v34
	v_or_b32_e32 v83, 0x5000, v34
	v_or_b32_e32 v84, 0x5800, v34
	v_or_b32_e32 v85, 0x6000, v34
	v_or_b32_e32 v86, 0x6800, v34
	v_or_b32_e32 v87, 0x7000, v34
	v_or_b32_e32 v88, 0x7800, v34
	v_add_co_ci_u32_e32 v69, vcc_lo, 0, v2, vcc_lo
	v_add_co_u32 v70, vcc_lo, v82, v70
	v_add_co_ci_u32_e32 v71, vcc_lo, 0, v2, vcc_lo
	v_add_co_u32 v72, vcc_lo, v82, v72
	;; [unrolled: 2-line block ×6, first 2 shown]
	v_add_co_ci_u32_e32 v81, vcc_lo, 0, v2, vcc_lo
	s_waitcnt vmcnt(7)
	v_mul_f32_e32 v90, v8, v21
	ds_load_2addr_stride64_b32 v[34:35], v19 offset0:8 offset1:12
	ds_load_2addr_stride64_b32 v[52:53], v19 offset0:40 offset1:44
	;; [unrolled: 1-line block ×6, first 2 shown]
	ds_load_2addr_stride64_b32 v[62:63], v19 offset1:4
	ds_load_2addr_stride64_b32 v[64:65], v19 offset0:32 offset1:36
	v_mul_f32_e32 v89, v15, v23
	s_waitcnt lgkmcnt(5)
	v_mul_f32_e32 v19, v54, v23
	s_waitcnt vmcnt(6)
	s_delay_alu instid0(VALU_DEP_2)
	v_dual_fmac_f32 v89, v54, v22 :: v_dual_mul_f32 v54, v17, v27
	s_waitcnt lgkmcnt(3)
	v_mul_f32_e32 v21, v59, v21
	v_fmac_f32_e32 v90, v59, v20
	v_fma_f32 v15, v15, v22, -v19
	v_add_co_u32 v19, vcc_lo, v82, v83
	s_waitcnt vmcnt(5)
	v_dual_mul_f32 v59, v18, v33 :: v_dual_fmac_f32 v54, v56, v26
	v_dual_mul_f32 v23, v56, v27 :: v_dual_mul_f32 v56, v10, v25
	v_mul_f32_e32 v27, v57, v33
	v_fma_f32 v8, v8, v20, -v21
	v_add_co_ci_u32_e32 v20, vcc_lo, 0, v2, vcc_lo
	v_add_co_u32 v21, vcc_lo, v82, v84
	v_add_co_ci_u32_e32 v22, vcc_lo, 0, v2, vcc_lo
	v_fmac_f32_e32 v59, v57, v32
	v_fma_f32 v27, v18, v32, -v27
	v_add_co_u32 v32, vcc_lo, v82, v85
	v_fma_f32 v57, v17, v26, -v23
	s_waitcnt lgkmcnt(2)
	v_mul_f32_e32 v23, v61, v25
	v_add_co_ci_u32_e32 v33, vcc_lo, 0, v2, vcc_lo
	v_add_co_u32 v17, vcc_lo, v82, v86
	v_add_co_ci_u32_e32 v18, vcc_lo, 0, v2, vcc_lo
	s_waitcnt vmcnt(4)
	v_dual_fmac_f32 v56, v61, v24 :: v_dual_mul_f32 v61, v16, v29
	v_fma_f32 v10, v10, v24, -v23
	v_add_co_u32 v23, vcc_lo, v82, v87
	v_mul_f32_e32 v29, v55, v29
	v_add_co_ci_u32_e32 v24, vcc_lo, 0, v2, vcc_lo
	v_add_co_u32 v25, vcc_lo, v82, v88
	v_add_co_ci_u32_e32 v26, vcc_lo, 0, v2, vcc_lo
	s_waitcnt vmcnt(3)
	v_dual_mul_f32 v2, v34, v39 :: v_dual_fmac_f32 v61, v55, v28
	v_mul_f32_e32 v39, v11, v39
	s_waitcnt vmcnt(1)
	v_mul_f32_e32 v55, v35, v45
	v_fma_f32 v16, v16, v28, -v29
	v_mul_f32_e32 v28, v13, v43
	s_waitcnt vmcnt(0)
	v_dual_mul_f32 v29, v53, v49 :: v_dual_mul_f32 v82, v52, v43
	v_fma_f32 v2, v11, v38, -v2
	v_sub_f32_e32 v10, v8, v10
	v_fmac_f32_e32 v28, v42, v52
	s_delay_alu instid0(VALU_DEP_4)
	v_fma_f32 v29, v14, v48, -v29
	v_mul_f32_e32 v14, v14, v49
	v_mul_f32_e32 v43, v58, v47
	v_dual_fmac_f32 v39, v38, v34 :: v_dual_mul_f32 v34, v5, v31
	v_fma_f32 v11, v12, v44, -v55
	v_mul_f32_e32 v12, v12, v45
	s_waitcnt lgkmcnt(0)
	v_dual_mul_f32 v45, v60, v51 :: v_dual_mul_f32 v38, v65, v41
	v_fma_f32 v13, v13, v42, -v82
	v_fmac_f32_e32 v14, v48, v53
	v_dual_fmac_f32 v12, v44, v35 :: v_dual_mul_f32 v35, v63, v37
	v_fmac_f32_e32 v34, v64, v30
	v_mul_f32_e32 v37, v4, v37
	v_fma_f32 v42, v7, v46, -v43
	v_fma_f32 v43, v9, v50, -v45
	v_mul_f32_e32 v31, v64, v31
	v_dual_mul_f32 v7, v7, v47 :: v_dual_sub_f32 v34, v62, v34
	v_fma_f32 v4, v4, v36, -v35
	s_delay_alu instid0(VALU_DEP_4) | instskip(NEXT) | instid1(VALU_DEP_4)
	v_sub_f32_e32 v35, v42, v43
	v_fma_f32 v5, v5, v30, -v31
	v_dual_sub_f32 v30, v89, v54 :: v_dual_fmac_f32 v37, v36, v63
	v_sub_f32_e32 v36, v61, v59
	s_delay_alu instid0(VALU_DEP_4)
	v_dual_add_f32 v44, v35, v34 :: v_dual_mul_f32 v41, v6, v41
	v_sub_f32_e32 v28, v39, v28
	v_fma_f32 v6, v6, v40, -v38
	v_mul_f32_e32 v9, v9, v51
	v_sub_f32_e32 v13, v2, v13
	v_sub_f32_e32 v38, v90, v56
	;; [unrolled: 1-line block ×4, first 2 shown]
	v_fmac_f32_e32 v41, v40, v65
	v_fmac_f32_e32 v7, v46, v58
	;; [unrolled: 1-line block ×3, first 2 shown]
	v_fma_f32 v8, v8, 2.0, -v10
	v_sub_f32_e32 v46, v6, v38
	v_sub_f32_e32 v40, v37, v41
	;; [unrolled: 1-line block ×3, first 2 shown]
	v_fma_f32 v4, v4, 2.0, -v6
	v_sub_f32_e32 v5, v3, v5
	v_fma_f32 v30, v89, 2.0, -v30
	v_sub_f32_e32 v9, v7, v9
	v_dual_sub_f32 v31, v15, v57 :: v_dual_add_f32 v48, v40, v10
	v_sub_f32_e32 v8, v4, v8
	v_fma_f32 v10, v61, 2.0, -v36
	s_delay_alu instid0(VALU_DEP_4)
	v_sub_f32_e32 v49, v5, v9
	v_sub_f32_e32 v29, v11, v29
	v_fma_f32 v50, v6, 2.0, -v46
	v_fma_f32 v2, v2, 2.0, -v13
	v_fma_f32 v3, v3, 2.0, -v5
	v_fma_f32 v15, v15, 2.0, -v31
	v_sub_f32_e32 v45, v29, v36
	v_fma_f32 v36, v39, 2.0, -v28
	s_delay_alu instid0(VALU_DEP_1) | instskip(SKIP_2) | instid1(VALU_DEP_1)
	v_sub_f32_e32 v30, v36, v30
	v_fma_f32 v7, v7, 2.0, -v9
	v_fma_f32 v9, v12, 2.0, -v14
	v_dual_sub_f32 v27, v16, v27 :: v_dual_sub_f32 v10, v9, v10
	s_delay_alu instid0(VALU_DEP_1)
	v_add_f32_e32 v47, v14, v27
	v_fma_f32 v12, v16, 2.0, -v27
	v_fma_f32 v27, v90, 2.0, -v38
	v_fmamk_f32 v38, v45, 0x3f3504f3, v46
	v_fma_f32 v35, v42, 2.0, -v35
	v_fmamk_f32 v42, v41, 0x3f3504f3, v49
	v_fma_f32 v11, v11, 2.0, -v29
	v_fma_f32 v16, v37, 2.0, -v40
	v_fmac_f32_e32 v38, 0xbf3504f3, v47
	v_fma_f32 v6, v29, 2.0, -v45
	s_delay_alu instid0(VALU_DEP_4) | instskip(SKIP_2) | instid1(VALU_DEP_4)
	v_dual_add_f32 v43, v28, v31 :: v_dual_sub_f32 v12, v11, v12
	v_fma_f32 v13, v13, 2.0, -v41
	v_fma_f32 v29, v40, 2.0, -v48
	v_fmamk_f32 v52, v6, 0xbf3504f3, v50
	s_delay_alu instid0(VALU_DEP_4)
	v_fmac_f32_e32 v42, 0xbf3504f3, v43
	v_fma_f32 v40, v5, 2.0, -v49
	v_fma_f32 v28, v28, 2.0, -v43
	;; [unrolled: 1-line block ×5, first 2 shown]
	v_fmamk_f32 v54, v13, 0xbf3504f3, v40
	v_fmamk_f32 v39, v47, 0x3f3504f3, v48
	v_sub_f32_e32 v35, v3, v35
	v_fma_f32 v14, v14, 2.0, -v47
	s_delay_alu instid0(VALU_DEP_4) | instskip(SKIP_1) | instid1(VALU_DEP_4)
	v_dual_sub_f32 v27, v16, v27 :: v_dual_fmac_f32 v54, 0xbf3504f3, v28
	v_sub_f32_e32 v7, v31, v7
	v_fma_f32 v55, v3, 2.0, -v35
	v_fmac_f32_e32 v39, 0x3f3504f3, v45
	v_sub_f32_e32 v47, v35, v30
	v_fma_f32 v30, v36, 2.0, -v30
	v_fma_f32 v36, v4, 2.0, -v8
	v_fmamk_f32 v37, v43, 0x3f3504f3, v44
	v_sub_f32_e32 v43, v8, v10
	v_dual_sub_f32 v15, v2, v15 :: v_dual_fmac_f32 v52, 0xbf3504f3, v14
	v_fma_f32 v46, v46, 2.0, -v38
	v_fma_f32 v49, v49, 2.0, -v42
	s_delay_alu instid0(VALU_DEP_4) | instskip(NEXT) | instid1(VALU_DEP_4)
	v_dual_fmamk_f32 v4, v43, 0x3f3504f3, v47 :: v_dual_add_f32 v45, v12, v27
	v_fma_f32 v12, v2, 2.0, -v15
	v_fma_f32 v34, v34, 2.0, -v44
	s_delay_alu instid0(VALU_DEP_4)
	v_fmamk_f32 v10, v46, 0xbec3ef15, v49
	v_fmamk_f32 v2, v38, 0x3f6c835e, v42
	v_fma_f32 v31, v31, 2.0, -v7
	v_sub_f32_e32 v56, v55, v12
	v_fma_f32 v59, v27, 2.0, -v45
	v_dual_fmamk_f32 v53, v14, 0xbf3504f3, v29 :: v_dual_sub_f32 v14, v36, v11
	v_fmac_f32_e32 v37, 0x3f3504f3, v41
	v_dual_add_f32 v41, v15, v7 :: v_dual_fmac_f32 v4, 0xbf3504f3, v45
	v_fma_f32 v15, v16, 2.0, -v27
	v_sub_f32_e32 v16, v31, v30
	v_fmac_f32_e32 v2, 0xbec3ef15, v39
	v_fma_f32 v60, v35, 2.0, -v47
	v_fma_f32 v55, v55, 2.0, -v56
	;; [unrolled: 1-line block ×3, first 2 shown]
	v_dual_fmamk_f32 v51, v28, 0xbf3504f3, v34 :: v_dual_sub_f32 v28, v15, v9
	v_fma_f32 v58, v8, 2.0, -v43
	v_add_f32_e32 v9, v16, v14
	v_fmamk_f32 v3, v39, 0x3f6c835e, v37
	s_delay_alu instid0(VALU_DEP_4) | instskip(NEXT) | instid1(VALU_DEP_4)
	v_dual_sub_f32 v36, v55, v36 :: v_dual_fmac_f32 v51, 0x3f3504f3, v13
	v_fmamk_f32 v12, v58, 0xbf3504f3, v60
	v_fmamk_f32 v5, v45, 0x3f3504f3, v41
	v_fma_f32 v44, v44, 2.0, -v37
	v_fma_f32 v48, v48, 2.0, -v39
	;; [unrolled: 1-line block ×3, first 2 shown]
	v_fmac_f32_e32 v12, 0xbf3504f3, v59
	v_fmac_f32_e32 v53, 0x3f3504f3, v6
	v_dual_fmac_f32 v3, 0x3ec3ef15, v38 :: v_dual_fmamk_f32 v6, v52, 0x3ec3ef15, v54
	v_fma_f32 v61, v34, 2.0, -v51
	v_fma_f32 v45, v50, 2.0, -v52
	s_delay_alu instid0(VALU_DEP_4)
	v_fma_f32 v50, v29, 2.0, -v53
	v_fma_f32 v62, v40, 2.0, -v54
	v_dual_fmamk_f32 v7, v53, 0x3ec3ef15, v51 :: v_dual_sub_f32 v8, v56, v28
	v_fmamk_f32 v11, v48, 0xbec3ef15, v44
	v_fmamk_f32 v13, v59, 0xbf3504f3, v57
	v_fma_f32 v31, v31, 2.0, -v16
	v_fma_f32 v38, v15, 2.0, -v28
	v_dual_fmac_f32 v6, 0xbf6c835e, v53 :: v_dual_fmamk_f32 v35, v50, 0xbf6c835e, v61
	v_fmamk_f32 v34, v45, 0xbf6c835e, v62
	v_fmac_f32_e32 v7, 0x3f6c835e, v52
	v_fmac_f32_e32 v5, 0x3f3504f3, v43
	v_fma_f32 v15, v37, 2.0, -v3
	v_fma_f32 v30, v16, 2.0, -v9
	;; [unrolled: 1-line block ×3, first 2 shown]
	v_fmac_f32_e32 v11, 0x3f6c835e, v46
	v_dual_fmac_f32 v10, 0xbf6c835e, v48 :: v_dual_sub_f32 v37, v31, v38
	v_fmac_f32_e32 v13, 0x3f3504f3, v58
	v_fmac_f32_e32 v35, 0x3ec3ef15, v45
	;; [unrolled: 1-line block ×3, first 2 shown]
	v_fma_f32 v39, v51, 2.0, -v7
	v_fma_f32 v38, v54, 2.0, -v6
	;; [unrolled: 1-line block ×13, first 2 shown]
	s_clause 0xf
	global_store_b64 v[70:71], v[29:30], off
	global_store_b64 v[72:73], v[38:39], off
	;; [unrolled: 1-line block ×9, first 2 shown]
	global_store_b64 v[0:1], v[46:47], off offset:2048
	global_store_b64 v[66:67], v[42:43], off
	global_store_b64 v[68:69], v[40:41], off
	global_store_b64 v[32:33], v[8:9], off
	global_store_b64 v[17:18], v[6:7], off
	global_store_b64 v[23:24], v[4:5], off
	global_store_b64 v[25:26], v[2:3], off
.LBB0_13:
	s_nop 0
	s_sendmsg sendmsg(MSG_DEALLOC_VGPRS)
	s_endpgm
	.section	.rodata,"a",@progbits
	.p2align	6, 0x0
	.amdhsa_kernel fft_rtc_fwd_len4096_factors_16_16_16_wgs_256_tpt_256_halfLds_sp_ip_CI_unitstride_sbrr_dirReg
		.amdhsa_group_segment_fixed_size 0
		.amdhsa_private_segment_fixed_size 0
		.amdhsa_kernarg_size 88
		.amdhsa_user_sgpr_count 15
		.amdhsa_user_sgpr_dispatch_ptr 0
		.amdhsa_user_sgpr_queue_ptr 0
		.amdhsa_user_sgpr_kernarg_segment_ptr 1
		.amdhsa_user_sgpr_dispatch_id 0
		.amdhsa_user_sgpr_private_segment_size 0
		.amdhsa_wavefront_size32 1
		.amdhsa_uses_dynamic_stack 0
		.amdhsa_enable_private_segment 0
		.amdhsa_system_sgpr_workgroup_id_x 1
		.amdhsa_system_sgpr_workgroup_id_y 0
		.amdhsa_system_sgpr_workgroup_id_z 0
		.amdhsa_system_sgpr_workgroup_info 0
		.amdhsa_system_vgpr_workitem_id 0
		.amdhsa_next_free_vgpr 91
		.amdhsa_next_free_sgpr 21
		.amdhsa_reserve_vcc 1
		.amdhsa_float_round_mode_32 0
		.amdhsa_float_round_mode_16_64 0
		.amdhsa_float_denorm_mode_32 3
		.amdhsa_float_denorm_mode_16_64 3
		.amdhsa_dx10_clamp 1
		.amdhsa_ieee_mode 1
		.amdhsa_fp16_overflow 0
		.amdhsa_workgroup_processor_mode 1
		.amdhsa_memory_ordered 1
		.amdhsa_forward_progress 0
		.amdhsa_shared_vgpr_count 0
		.amdhsa_exception_fp_ieee_invalid_op 0
		.amdhsa_exception_fp_denorm_src 0
		.amdhsa_exception_fp_ieee_div_zero 0
		.amdhsa_exception_fp_ieee_overflow 0
		.amdhsa_exception_fp_ieee_underflow 0
		.amdhsa_exception_fp_ieee_inexact 0
		.amdhsa_exception_int_div_zero 0
	.end_amdhsa_kernel
	.text
.Lfunc_end0:
	.size	fft_rtc_fwd_len4096_factors_16_16_16_wgs_256_tpt_256_halfLds_sp_ip_CI_unitstride_sbrr_dirReg, .Lfunc_end0-fft_rtc_fwd_len4096_factors_16_16_16_wgs_256_tpt_256_halfLds_sp_ip_CI_unitstride_sbrr_dirReg
                                        ; -- End function
	.section	.AMDGPU.csdata,"",@progbits
; Kernel info:
; codeLenInByte = 6876
; NumSgprs: 23
; NumVgprs: 91
; ScratchSize: 0
; MemoryBound: 0
; FloatMode: 240
; IeeeMode: 1
; LDSByteSize: 0 bytes/workgroup (compile time only)
; SGPRBlocks: 2
; VGPRBlocks: 11
; NumSGPRsForWavesPerEU: 23
; NumVGPRsForWavesPerEU: 91
; Occupancy: 16
; WaveLimiterHint : 1
; COMPUTE_PGM_RSRC2:SCRATCH_EN: 0
; COMPUTE_PGM_RSRC2:USER_SGPR: 15
; COMPUTE_PGM_RSRC2:TRAP_HANDLER: 0
; COMPUTE_PGM_RSRC2:TGID_X_EN: 1
; COMPUTE_PGM_RSRC2:TGID_Y_EN: 0
; COMPUTE_PGM_RSRC2:TGID_Z_EN: 0
; COMPUTE_PGM_RSRC2:TIDIG_COMP_CNT: 0
	.text
	.p2alignl 7, 3214868480
	.fill 96, 4, 3214868480
	.type	__hip_cuid_ef213ef6b36ee1bb,@object ; @__hip_cuid_ef213ef6b36ee1bb
	.section	.bss,"aw",@nobits
	.globl	__hip_cuid_ef213ef6b36ee1bb
__hip_cuid_ef213ef6b36ee1bb:
	.byte	0                               ; 0x0
	.size	__hip_cuid_ef213ef6b36ee1bb, 1

	.ident	"AMD clang version 19.0.0git (https://github.com/RadeonOpenCompute/llvm-project roc-6.4.0 25133 c7fe45cf4b819c5991fe208aaa96edf142730f1d)"
	.section	".note.GNU-stack","",@progbits
	.addrsig
	.addrsig_sym __hip_cuid_ef213ef6b36ee1bb
	.amdgpu_metadata
---
amdhsa.kernels:
  - .args:
      - .actual_access:  read_only
        .address_space:  global
        .offset:         0
        .size:           8
        .value_kind:     global_buffer
      - .offset:         8
        .size:           8
        .value_kind:     by_value
      - .actual_access:  read_only
        .address_space:  global
        .offset:         16
        .size:           8
        .value_kind:     global_buffer
      - .actual_access:  read_only
        .address_space:  global
        .offset:         24
        .size:           8
        .value_kind:     global_buffer
      - .offset:         32
        .size:           8
        .value_kind:     by_value
      - .actual_access:  read_only
        .address_space:  global
        .offset:         40
        .size:           8
        .value_kind:     global_buffer
      - .actual_access:  read_only
        .address_space:  global
        .offset:         48
        .size:           8
        .value_kind:     global_buffer
      - .offset:         56
        .size:           4
        .value_kind:     by_value
      - .actual_access:  read_only
        .address_space:  global
        .offset:         64
        .size:           8
        .value_kind:     global_buffer
      - .actual_access:  read_only
        .address_space:  global
        .offset:         72
        .size:           8
        .value_kind:     global_buffer
      - .address_space:  global
        .offset:         80
        .size:           8
        .value_kind:     global_buffer
    .group_segment_fixed_size: 0
    .kernarg_segment_align: 8
    .kernarg_segment_size: 88
    .language:       OpenCL C
    .language_version:
      - 2
      - 0
    .max_flat_workgroup_size: 256
    .name:           fft_rtc_fwd_len4096_factors_16_16_16_wgs_256_tpt_256_halfLds_sp_ip_CI_unitstride_sbrr_dirReg
    .private_segment_fixed_size: 0
    .sgpr_count:     23
    .sgpr_spill_count: 0
    .symbol:         fft_rtc_fwd_len4096_factors_16_16_16_wgs_256_tpt_256_halfLds_sp_ip_CI_unitstride_sbrr_dirReg.kd
    .uniform_work_group_size: 1
    .uses_dynamic_stack: false
    .vgpr_count:     91
    .vgpr_spill_count: 0
    .wavefront_size: 32
    .workgroup_processor_mode: 1
amdhsa.target:   amdgcn-amd-amdhsa--gfx1100
amdhsa.version:
  - 1
  - 2
...

	.end_amdgpu_metadata
